;; amdgpu-corpus repo=ROCm/rocFFT kind=compiled arch=gfx1201 opt=O3
	.text
	.amdgcn_target "amdgcn-amd-amdhsa--gfx1201"
	.amdhsa_code_object_version 6
	.protected	fft_rtc_fwd_len630_factors_3_3_5_7_2_wgs_63_tpt_63_halfLds_dp_op_CI_CI_unitstride_sbrr_C2R_dirReg ; -- Begin function fft_rtc_fwd_len630_factors_3_3_5_7_2_wgs_63_tpt_63_halfLds_dp_op_CI_CI_unitstride_sbrr_C2R_dirReg
	.globl	fft_rtc_fwd_len630_factors_3_3_5_7_2_wgs_63_tpt_63_halfLds_dp_op_CI_CI_unitstride_sbrr_C2R_dirReg
	.p2align	8
	.type	fft_rtc_fwd_len630_factors_3_3_5_7_2_wgs_63_tpt_63_halfLds_dp_op_CI_CI_unitstride_sbrr_C2R_dirReg,@function
fft_rtc_fwd_len630_factors_3_3_5_7_2_wgs_63_tpt_63_halfLds_dp_op_CI_CI_unitstride_sbrr_C2R_dirReg: ; @fft_rtc_fwd_len630_factors_3_3_5_7_2_wgs_63_tpt_63_halfLds_dp_op_CI_CI_unitstride_sbrr_C2R_dirReg
; %bb.0:
	s_clause 0x2
	s_load_b128 s[8:11], s[0:1], 0x0
	s_load_b128 s[4:7], s[0:1], 0x58
	;; [unrolled: 1-line block ×3, first 2 shown]
	v_mul_u32_u24_e32 v1, 0x411, v0
	v_mov_b32_e32 v3, 0
	s_delay_alu instid0(VALU_DEP_2) | instskip(NEXT) | instid1(VALU_DEP_1)
	v_lshrrev_b32_e32 v1, 16, v1
	v_add_nc_u32_e32 v5, ttmp9, v1
	v_mov_b32_e32 v1, 0
	v_mov_b32_e32 v2, 0
	;; [unrolled: 1-line block ×3, first 2 shown]
	s_wait_kmcnt 0x0
	v_cmp_lt_u64_e64 s2, s[10:11], 2
	s_delay_alu instid0(VALU_DEP_1)
	s_and_b32 vcc_lo, exec_lo, s2
	s_cbranch_vccnz .LBB0_8
; %bb.1:
	s_load_b64 s[2:3], s[0:1], 0x10
	v_mov_b32_e32 v1, 0
	v_mov_b32_e32 v2, 0
	s_add_nc_u64 s[16:17], s[14:15], 8
	s_add_nc_u64 s[18:19], s[12:13], 8
	s_mov_b64 s[20:21], 1
	s_delay_alu instid0(VALU_DEP_1)
	v_dual_mov_b32 v57, v2 :: v_dual_mov_b32 v56, v1
	s_wait_kmcnt 0x0
	s_add_nc_u64 s[22:23], s[2:3], 8
	s_mov_b32 s3, 0
.LBB0_2:                                ; =>This Inner Loop Header: Depth=1
	s_load_b64 s[24:25], s[22:23], 0x0
                                        ; implicit-def: $vgpr60_vgpr61
	s_mov_b32 s2, exec_lo
	s_wait_kmcnt 0x0
	v_or_b32_e32 v4, s25, v6
	s_delay_alu instid0(VALU_DEP_1)
	v_cmpx_ne_u64_e32 0, v[3:4]
	s_wait_alu 0xfffe
	s_xor_b32 s26, exec_lo, s2
	s_cbranch_execz .LBB0_4
; %bb.3:                                ;   in Loop: Header=BB0_2 Depth=1
	s_cvt_f32_u32 s2, s24
	s_cvt_f32_u32 s27, s25
	s_sub_nc_u64 s[30:31], 0, s[24:25]
	s_wait_alu 0xfffe
	s_delay_alu instid0(SALU_CYCLE_1) | instskip(SKIP_1) | instid1(SALU_CYCLE_2)
	s_fmamk_f32 s2, s27, 0x4f800000, s2
	s_wait_alu 0xfffe
	v_s_rcp_f32 s2, s2
	s_delay_alu instid0(TRANS32_DEP_1) | instskip(SKIP_1) | instid1(SALU_CYCLE_2)
	s_mul_f32 s2, s2, 0x5f7ffffc
	s_wait_alu 0xfffe
	s_mul_f32 s27, s2, 0x2f800000
	s_wait_alu 0xfffe
	s_delay_alu instid0(SALU_CYCLE_2) | instskip(SKIP_1) | instid1(SALU_CYCLE_2)
	s_trunc_f32 s27, s27
	s_wait_alu 0xfffe
	s_fmamk_f32 s2, s27, 0xcf800000, s2
	s_cvt_u32_f32 s29, s27
	s_wait_alu 0xfffe
	s_delay_alu instid0(SALU_CYCLE_1) | instskip(SKIP_1) | instid1(SALU_CYCLE_2)
	s_cvt_u32_f32 s28, s2
	s_wait_alu 0xfffe
	s_mul_u64 s[34:35], s[30:31], s[28:29]
	s_wait_alu 0xfffe
	s_mul_hi_u32 s37, s28, s35
	s_mul_i32 s36, s28, s35
	s_mul_hi_u32 s2, s28, s34
	s_mul_i32 s33, s29, s34
	s_wait_alu 0xfffe
	s_add_nc_u64 s[36:37], s[2:3], s[36:37]
	s_mul_hi_u32 s27, s29, s34
	s_mul_hi_u32 s38, s29, s35
	s_add_co_u32 s2, s36, s33
	s_wait_alu 0xfffe
	s_add_co_ci_u32 s2, s37, s27
	s_mul_i32 s34, s29, s35
	s_add_co_ci_u32 s35, s38, 0
	s_wait_alu 0xfffe
	s_add_nc_u64 s[34:35], s[2:3], s[34:35]
	s_wait_alu 0xfffe
	v_add_co_u32 v4, s2, s28, s34
	s_delay_alu instid0(VALU_DEP_1) | instskip(SKIP_1) | instid1(VALU_DEP_1)
	s_cmp_lg_u32 s2, 0
	s_add_co_ci_u32 s29, s29, s35
	v_readfirstlane_b32 s28, v4
	s_wait_alu 0xfffe
	s_delay_alu instid0(VALU_DEP_1)
	s_mul_u64 s[30:31], s[30:31], s[28:29]
	s_wait_alu 0xfffe
	s_mul_hi_u32 s35, s28, s31
	s_mul_i32 s34, s28, s31
	s_mul_hi_u32 s2, s28, s30
	s_mul_i32 s33, s29, s30
	s_wait_alu 0xfffe
	s_add_nc_u64 s[34:35], s[2:3], s[34:35]
	s_mul_hi_u32 s27, s29, s30
	s_mul_hi_u32 s28, s29, s31
	s_wait_alu 0xfffe
	s_add_co_u32 s2, s34, s33
	s_add_co_ci_u32 s2, s35, s27
	s_mul_i32 s30, s29, s31
	s_add_co_ci_u32 s31, s28, 0
	s_wait_alu 0xfffe
	s_add_nc_u64 s[30:31], s[2:3], s[30:31]
	s_wait_alu 0xfffe
	v_add_co_u32 v4, s2, v4, s30
	s_delay_alu instid0(VALU_DEP_1) | instskip(SKIP_1) | instid1(VALU_DEP_1)
	s_cmp_lg_u32 s2, 0
	s_add_co_ci_u32 s2, s29, s31
	v_mul_hi_u32 v13, v5, v4
	s_wait_alu 0xfffe
	v_mad_co_u64_u32 v[7:8], null, v5, s2, 0
	v_mad_co_u64_u32 v[9:10], null, v6, v4, 0
	;; [unrolled: 1-line block ×3, first 2 shown]
	s_delay_alu instid0(VALU_DEP_3) | instskip(SKIP_1) | instid1(VALU_DEP_4)
	v_add_co_u32 v4, vcc_lo, v13, v7
	s_wait_alu 0xfffd
	v_add_co_ci_u32_e32 v7, vcc_lo, 0, v8, vcc_lo
	s_delay_alu instid0(VALU_DEP_2) | instskip(SKIP_1) | instid1(VALU_DEP_2)
	v_add_co_u32 v4, vcc_lo, v4, v9
	s_wait_alu 0xfffd
	v_add_co_ci_u32_e32 v4, vcc_lo, v7, v10, vcc_lo
	s_wait_alu 0xfffd
	v_add_co_ci_u32_e32 v7, vcc_lo, 0, v12, vcc_lo
	s_delay_alu instid0(VALU_DEP_2) | instskip(SKIP_1) | instid1(VALU_DEP_2)
	v_add_co_u32 v4, vcc_lo, v4, v11
	s_wait_alu 0xfffd
	v_add_co_ci_u32_e32 v9, vcc_lo, 0, v7, vcc_lo
	s_delay_alu instid0(VALU_DEP_2) | instskip(SKIP_1) | instid1(VALU_DEP_3)
	v_mul_lo_u32 v10, s25, v4
	v_mad_co_u64_u32 v[7:8], null, s24, v4, 0
	v_mul_lo_u32 v11, s24, v9
	s_delay_alu instid0(VALU_DEP_2) | instskip(NEXT) | instid1(VALU_DEP_2)
	v_sub_co_u32 v7, vcc_lo, v5, v7
	v_add3_u32 v8, v8, v11, v10
	s_delay_alu instid0(VALU_DEP_1) | instskip(SKIP_1) | instid1(VALU_DEP_1)
	v_sub_nc_u32_e32 v10, v6, v8
	s_wait_alu 0xfffd
	v_subrev_co_ci_u32_e64 v10, s2, s25, v10, vcc_lo
	v_add_co_u32 v11, s2, v4, 2
	s_wait_alu 0xf1ff
	v_add_co_ci_u32_e64 v12, s2, 0, v9, s2
	v_sub_co_u32 v13, s2, v7, s24
	v_sub_co_ci_u32_e32 v8, vcc_lo, v6, v8, vcc_lo
	s_wait_alu 0xf1ff
	v_subrev_co_ci_u32_e64 v10, s2, 0, v10, s2
	s_delay_alu instid0(VALU_DEP_3) | instskip(NEXT) | instid1(VALU_DEP_3)
	v_cmp_le_u32_e32 vcc_lo, s24, v13
	v_cmp_eq_u32_e64 s2, s25, v8
	s_wait_alu 0xfffd
	v_cndmask_b32_e64 v13, 0, -1, vcc_lo
	v_cmp_le_u32_e32 vcc_lo, s25, v10
	s_wait_alu 0xfffd
	v_cndmask_b32_e64 v14, 0, -1, vcc_lo
	v_cmp_le_u32_e32 vcc_lo, s24, v7
	;; [unrolled: 3-line block ×3, first 2 shown]
	s_wait_alu 0xfffd
	v_cndmask_b32_e64 v15, 0, -1, vcc_lo
	v_cmp_eq_u32_e32 vcc_lo, s25, v10
	s_wait_alu 0xf1ff
	s_delay_alu instid0(VALU_DEP_2)
	v_cndmask_b32_e64 v7, v15, v7, s2
	s_wait_alu 0xfffd
	v_cndmask_b32_e32 v10, v14, v13, vcc_lo
	v_add_co_u32 v13, vcc_lo, v4, 1
	s_wait_alu 0xfffd
	v_add_co_ci_u32_e32 v14, vcc_lo, 0, v9, vcc_lo
	s_delay_alu instid0(VALU_DEP_3) | instskip(SKIP_1) | instid1(VALU_DEP_2)
	v_cmp_ne_u32_e32 vcc_lo, 0, v10
	s_wait_alu 0xfffd
	v_cndmask_b32_e32 v8, v14, v12, vcc_lo
	v_cndmask_b32_e32 v10, v13, v11, vcc_lo
	v_cmp_ne_u32_e32 vcc_lo, 0, v7
	s_wait_alu 0xfffd
	s_delay_alu instid0(VALU_DEP_2)
	v_dual_cndmask_b32 v61, v9, v8 :: v_dual_cndmask_b32 v60, v4, v10
.LBB0_4:                                ;   in Loop: Header=BB0_2 Depth=1
	s_wait_alu 0xfffe
	s_and_not1_saveexec_b32 s2, s26
	s_cbranch_execz .LBB0_6
; %bb.5:                                ;   in Loop: Header=BB0_2 Depth=1
	v_cvt_f32_u32_e32 v4, s24
	s_sub_co_i32 s26, 0, s24
	v_mov_b32_e32 v61, v3
	s_delay_alu instid0(VALU_DEP_2) | instskip(NEXT) | instid1(TRANS32_DEP_1)
	v_rcp_iflag_f32_e32 v4, v4
	v_mul_f32_e32 v4, 0x4f7ffffe, v4
	s_delay_alu instid0(VALU_DEP_1) | instskip(SKIP_1) | instid1(VALU_DEP_1)
	v_cvt_u32_f32_e32 v4, v4
	s_wait_alu 0xfffe
	v_mul_lo_u32 v7, s26, v4
	s_delay_alu instid0(VALU_DEP_1) | instskip(NEXT) | instid1(VALU_DEP_1)
	v_mul_hi_u32 v7, v4, v7
	v_add_nc_u32_e32 v4, v4, v7
	s_delay_alu instid0(VALU_DEP_1) | instskip(NEXT) | instid1(VALU_DEP_1)
	v_mul_hi_u32 v4, v5, v4
	v_mul_lo_u32 v7, v4, s24
	v_add_nc_u32_e32 v8, 1, v4
	s_delay_alu instid0(VALU_DEP_2) | instskip(NEXT) | instid1(VALU_DEP_1)
	v_sub_nc_u32_e32 v7, v5, v7
	v_subrev_nc_u32_e32 v9, s24, v7
	v_cmp_le_u32_e32 vcc_lo, s24, v7
	s_wait_alu 0xfffd
	s_delay_alu instid0(VALU_DEP_2) | instskip(NEXT) | instid1(VALU_DEP_1)
	v_dual_cndmask_b32 v7, v7, v9 :: v_dual_cndmask_b32 v4, v4, v8
	v_cmp_le_u32_e32 vcc_lo, s24, v7
	s_delay_alu instid0(VALU_DEP_2) | instskip(SKIP_1) | instid1(VALU_DEP_1)
	v_add_nc_u32_e32 v8, 1, v4
	s_wait_alu 0xfffd
	v_cndmask_b32_e32 v60, v4, v8, vcc_lo
.LBB0_6:                                ;   in Loop: Header=BB0_2 Depth=1
	s_wait_alu 0xfffe
	s_or_b32 exec_lo, exec_lo, s2
	v_mul_lo_u32 v4, v61, s24
	s_delay_alu instid0(VALU_DEP_2)
	v_mul_lo_u32 v9, v60, s25
	s_load_b64 s[26:27], s[18:19], 0x0
	v_mad_co_u64_u32 v[7:8], null, v60, s24, 0
	s_load_b64 s[24:25], s[16:17], 0x0
	s_add_nc_u64 s[20:21], s[20:21], 1
	s_add_nc_u64 s[16:17], s[16:17], 8
	s_wait_alu 0xfffe
	v_cmp_ge_u64_e64 s2, s[20:21], s[10:11]
	s_add_nc_u64 s[18:19], s[18:19], 8
	s_add_nc_u64 s[22:23], s[22:23], 8
	v_add3_u32 v4, v8, v9, v4
	v_sub_co_u32 v5, vcc_lo, v5, v7
	s_wait_alu 0xfffd
	s_delay_alu instid0(VALU_DEP_2) | instskip(SKIP_2) | instid1(VALU_DEP_1)
	v_sub_co_ci_u32_e32 v4, vcc_lo, v6, v4, vcc_lo
	s_and_b32 vcc_lo, exec_lo, s2
	s_wait_kmcnt 0x0
	v_mul_lo_u32 v6, s26, v4
	v_mul_lo_u32 v7, s27, v5
	v_mad_co_u64_u32 v[1:2], null, s26, v5, v[1:2]
	v_mul_lo_u32 v4, s24, v4
	v_mul_lo_u32 v8, s25, v5
	v_mad_co_u64_u32 v[56:57], null, s24, v5, v[56:57]
	s_delay_alu instid0(VALU_DEP_4) | instskip(NEXT) | instid1(VALU_DEP_2)
	v_add3_u32 v2, v7, v2, v6
	v_add3_u32 v57, v8, v57, v4
	s_wait_alu 0xfffe
	s_cbranch_vccnz .LBB0_9
; %bb.7:                                ;   in Loop: Header=BB0_2 Depth=1
	v_dual_mov_b32 v5, v60 :: v_dual_mov_b32 v6, v61
	s_branch .LBB0_2
.LBB0_8:
	v_dual_mov_b32 v57, v2 :: v_dual_mov_b32 v56, v1
	v_dual_mov_b32 v61, v6 :: v_dual_mov_b32 v60, v5
.LBB0_9:
	s_load_b64 s[0:1], s[0:1], 0x28
	v_mul_hi_u32 v3, 0x4104105, v0
	s_lshl_b64 s[10:11], s[10:11], 3
                                        ; implicit-def: $vgpr58
                                        ; implicit-def: $vgpr4_vgpr5
	s_wait_alu 0xfffe
	s_add_nc_u64 s[2:3], s[14:15], s[10:11]
	s_wait_kmcnt 0x0
	v_cmp_gt_u64_e32 vcc_lo, s[0:1], v[60:61]
	v_cmp_le_u64_e64 s0, s[0:1], v[60:61]
	s_delay_alu instid0(VALU_DEP_1)
	s_and_saveexec_b32 s1, s0
	s_wait_alu 0xfffe
	s_xor_b32 s0, exec_lo, s1
; %bb.10:
	v_mul_u32_u24_e32 v1, 63, v3
	v_mov_b32_e32 v59, 0
                                        ; implicit-def: $vgpr3
	s_delay_alu instid0(VALU_DEP_2) | instskip(NEXT) | instid1(VALU_DEP_1)
	v_sub_nc_u32_e32 v58, v0, v1
                                        ; implicit-def: $vgpr0
                                        ; implicit-def: $vgpr1_vgpr2
	v_dual_mov_b32 v4, v58 :: v_dual_mov_b32 v5, v59
; %bb.11:
	s_wait_alu 0xfffe
	s_or_saveexec_b32 s1, s0
	s_load_b64 s[2:3], s[2:3], 0x0
	s_xor_b32 exec_lo, exec_lo, s1
	s_cbranch_execz .LBB0_15
; %bb.12:
	s_add_nc_u64 s[10:11], s[12:13], s[10:11]
	v_lshlrev_b64_e32 v[1:2], 4, v[1:2]
	s_load_b64 s[10:11], s[10:11], 0x0
	v_mov_b32_e32 v59, 0
	s_wait_kmcnt 0x0
	v_mul_lo_u32 v6, s11, v60
	v_mul_lo_u32 v7, s10, v61
	v_mad_co_u64_u32 v[4:5], null, s10, v60, 0
	s_delay_alu instid0(VALU_DEP_1) | instskip(SKIP_1) | instid1(VALU_DEP_2)
	v_add3_u32 v5, v5, v7, v6
	v_mul_u32_u24_e32 v6, 63, v3
	v_lshlrev_b64_e32 v[3:4], 4, v[4:5]
	s_delay_alu instid0(VALU_DEP_2) | instskip(NEXT) | instid1(VALU_DEP_2)
	v_sub_nc_u32_e32 v58, v0, v6
	v_add_co_u32 v0, s0, s4, v3
	s_wait_alu 0xf1ff
	s_delay_alu instid0(VALU_DEP_3) | instskip(NEXT) | instid1(VALU_DEP_3)
	v_add_co_ci_u32_e64 v3, s0, s5, v4, s0
	v_lshlrev_b32_e32 v4, 4, v58
	s_delay_alu instid0(VALU_DEP_3) | instskip(SKIP_1) | instid1(VALU_DEP_3)
	v_add_co_u32 v0, s0, v0, v1
	s_wait_alu 0xf1ff
	v_add_co_ci_u32_e64 v1, s0, v3, v2, s0
	s_mov_b32 s4, exec_lo
	s_delay_alu instid0(VALU_DEP_2) | instskip(SKIP_1) | instid1(VALU_DEP_2)
	v_add_co_u32 v2, s0, v0, v4
	s_wait_alu 0xf1ff
	v_add_co_ci_u32_e64 v3, s0, 0, v1, s0
	s_clause 0x9
	global_load_b128 v[6:9], v[2:3], off
	global_load_b128 v[10:13], v[2:3], off offset:1008
	global_load_b128 v[14:17], v[2:3], off offset:2016
	;; [unrolled: 1-line block ×9, first 2 shown]
	v_add_nc_u32_e32 v2, 0, v4
	v_dual_mov_b32 v4, v58 :: v_dual_mov_b32 v5, v59
	s_wait_loadcnt 0x9
	ds_store_b128 v2, v[6:9]
	s_wait_loadcnt 0x8
	ds_store_b128 v2, v[10:13] offset:1008
	s_wait_loadcnt 0x7
	ds_store_b128 v2, v[14:17] offset:2016
	;; [unrolled: 2-line block ×9, first 2 shown]
	v_cmpx_eq_u32_e32 62, v58
	s_cbranch_execz .LBB0_14
; %bb.13:
	global_load_b128 v[0:3], v[0:1], off offset:10080
	v_mov_b32_e32 v4, 62
	v_dual_mov_b32 v5, 0 :: v_dual_mov_b32 v58, 62
	s_wait_loadcnt 0x0
	ds_store_b128 v59, v[0:3] offset:10080
.LBB0_14:
	s_wait_alu 0xfffe
	s_or_b32 exec_lo, exec_lo, s4
.LBB0_15:
	s_delay_alu instid0(SALU_CYCLE_1)
	s_or_b32 exec_lo, exec_lo, s1
	v_lshlrev_b32_e32 v0, 4, v58
	global_wb scope:SCOPE_SE
	s_wait_dscnt 0x0
	s_wait_kmcnt 0x0
	s_barrier_signal -1
	s_barrier_wait -1
	global_inv scope:SCOPE_SE
	v_add_nc_u32_e32 v66, 0, v0
	v_sub_nc_u32_e32 v10, 0, v0
	v_lshlrev_b64_e32 v[62:63], 4, v[4:5]
	s_mov_b32 s1, exec_lo
	ds_load_b64 v[6:7], v66
	ds_load_b64 v[8:9], v10 offset:10080
	s_wait_dscnt 0x0
	v_add_f64_e32 v[0:1], v[6:7], v[8:9]
	v_add_f64_e64 v[2:3], v[6:7], -v[8:9]
	v_cmpx_ne_u32_e32 0, v58
	s_wait_alu 0xfffe
	s_xor_b32 s1, exec_lo, s1
	s_cbranch_execz .LBB0_17
; %bb.16:
	v_add_co_u32 v0, s0, s8, v62
	s_wait_alu 0xf1ff
	v_add_co_ci_u32_e64 v1, s0, s9, v63, s0
	v_add_f64_e32 v[13:14], v[6:7], v[8:9]
	v_add_f64_e64 v[8:9], v[6:7], -v[8:9]
	global_load_b128 v[2:5], v[0:1], off offset:10032
	ds_load_b64 v[0:1], v10 offset:10088
	ds_load_b64 v[11:12], v66 offset:8
	s_wait_dscnt 0x0
	v_add_f64_e32 v[6:7], v[0:1], v[11:12]
	v_add_f64_e64 v[0:1], v[11:12], -v[0:1]
	s_wait_loadcnt 0x0
	v_fma_f64 v[11:12], v[8:9], v[4:5], v[13:14]
	v_fma_f64 v[13:14], -v[8:9], v[4:5], v[13:14]
	s_delay_alu instid0(VALU_DEP_3) | instskip(SKIP_1) | instid1(VALU_DEP_4)
	v_fma_f64 v[15:16], v[6:7], v[4:5], -v[0:1]
	v_fma_f64 v[17:18], v[6:7], v[4:5], v[0:1]
	v_fma_f64 v[0:1], -v[6:7], v[2:3], v[11:12]
	s_delay_alu instid0(VALU_DEP_4) | instskip(NEXT) | instid1(VALU_DEP_4)
	v_fma_f64 v[4:5], v[6:7], v[2:3], v[13:14]
	v_fma_f64 v[6:7], v[8:9], v[2:3], v[15:16]
	s_delay_alu instid0(VALU_DEP_4)
	v_fma_f64 v[2:3], v[8:9], v[2:3], v[17:18]
	ds_store_b128 v10, v[4:7] offset:10080
.LBB0_17:
	s_wait_alu 0xfffe
	s_and_not1_saveexec_b32 s0, s1
	s_cbranch_execz .LBB0_19
; %bb.18:
	v_mov_b32_e32 v8, 0
	ds_load_b128 v[4:7], v8 offset:5040
	s_wait_dscnt 0x0
	v_add_f64_e32 v[4:5], v[4:5], v[4:5]
	v_mul_f64_e32 v[6:7], -2.0, v[6:7]
	ds_store_b128 v8, v[4:7] offset:5040
.LBB0_19:
	s_wait_alu 0xfffe
	s_or_b32 exec_lo, exec_lo, s0
	v_mov_b32_e32 v59, 0
	s_add_nc_u64 s[0:1], s[8:9], 0x2730
	s_mov_b32 s5, 0xbfebb67a
	s_delay_alu instid0(VALU_DEP_1) | instskip(SKIP_1) | instid1(VALU_DEP_1)
	v_lshlrev_b64_e32 v[64:65], 4, v[58:59]
	s_wait_alu 0xfffe
	v_add_co_u32 v23, s0, s0, v64
	s_wait_alu 0xf1ff
	s_delay_alu instid0(VALU_DEP_2)
	v_add_co_ci_u32_e64 v24, s0, s1, v65, s0
	s_mov_b32 s0, 0xe8584caa
	s_mov_b32 s1, 0x3febb67a
	s_wait_alu 0xfffe
	s_mov_b32 s4, s0
	s_clause 0x1
	global_load_b128 v[4:7], v[23:24], off offset:1008
	global_load_b128 v[11:14], v[23:24], off offset:2016
	ds_store_b128 v66, v[0:3]
	ds_load_b128 v[0:3], v66 offset:1008
	ds_load_b128 v[15:18], v10 offset:9072
	global_load_b128 v[19:22], v[23:24], off offset:3024
	s_wait_dscnt 0x0
	v_add_f64_e32 v[8:9], v[0:1], v[15:16]
	v_add_f64_e32 v[25:26], v[17:18], v[2:3]
	v_add_f64_e64 v[15:16], v[0:1], -v[15:16]
	v_add_f64_e64 v[0:1], v[2:3], -v[17:18]
	s_wait_loadcnt 0x2
	s_delay_alu instid0(VALU_DEP_2) | instskip(NEXT) | instid1(VALU_DEP_2)
	v_fma_f64 v[2:3], v[15:16], v[6:7], v[8:9]
	v_fma_f64 v[17:18], v[25:26], v[6:7], v[0:1]
	v_fma_f64 v[8:9], -v[15:16], v[6:7], v[8:9]
	v_fma_f64 v[27:28], v[25:26], v[6:7], -v[0:1]
	s_delay_alu instid0(VALU_DEP_4) | instskip(NEXT) | instid1(VALU_DEP_4)
	v_fma_f64 v[0:1], -v[25:26], v[4:5], v[2:3]
	v_fma_f64 v[2:3], v[15:16], v[4:5], v[17:18]
	s_delay_alu instid0(VALU_DEP_4) | instskip(NEXT) | instid1(VALU_DEP_4)
	v_fma_f64 v[6:7], v[25:26], v[4:5], v[8:9]
	v_fma_f64 v[8:9], v[15:16], v[4:5], v[27:28]
	ds_store_b128 v66, v[0:3] offset:1008
	ds_store_b128 v10, v[6:9] offset:9072
	ds_load_b128 v[0:3], v66 offset:2016
	ds_load_b128 v[4:7], v10 offset:8064
	global_load_b128 v[15:18], v[23:24], off offset:4032
	s_wait_dscnt 0x0
	v_add_f64_e32 v[8:9], v[0:1], v[4:5]
	v_add_f64_e32 v[23:24], v[6:7], v[2:3]
	v_add_f64_e64 v[25:26], v[0:1], -v[4:5]
	v_add_f64_e64 v[0:1], v[2:3], -v[6:7]
	s_wait_loadcnt 0x2
	s_delay_alu instid0(VALU_DEP_2) | instskip(NEXT) | instid1(VALU_DEP_2)
	v_fma_f64 v[2:3], v[25:26], v[13:14], v[8:9]
	v_fma_f64 v[4:5], v[23:24], v[13:14], v[0:1]
	v_fma_f64 v[6:7], -v[25:26], v[13:14], v[8:9]
	v_fma_f64 v[8:9], v[23:24], v[13:14], -v[0:1]
	s_delay_alu instid0(VALU_DEP_4) | instskip(NEXT) | instid1(VALU_DEP_4)
	v_fma_f64 v[0:1], -v[23:24], v[11:12], v[2:3]
	v_fma_f64 v[2:3], v[25:26], v[11:12], v[4:5]
	s_delay_alu instid0(VALU_DEP_4) | instskip(NEXT) | instid1(VALU_DEP_4)
	v_fma_f64 v[4:5], v[23:24], v[11:12], v[6:7]
	v_fma_f64 v[6:7], v[25:26], v[11:12], v[8:9]
	ds_store_b128 v66, v[0:3] offset:2016
	ds_store_b128 v10, v[4:7] offset:8064
	ds_load_b128 v[0:3], v66 offset:3024
	ds_load_b128 v[4:7], v10 offset:7056
	s_wait_dscnt 0x0
	v_add_f64_e32 v[8:9], v[0:1], v[4:5]
	v_add_f64_e32 v[11:12], v[6:7], v[2:3]
	v_add_f64_e64 v[13:14], v[0:1], -v[4:5]
	v_add_f64_e64 v[0:1], v[2:3], -v[6:7]
	s_wait_loadcnt 0x1
	s_delay_alu instid0(VALU_DEP_2) | instskip(NEXT) | instid1(VALU_DEP_2)
	v_fma_f64 v[2:3], v[13:14], v[21:22], v[8:9]
	v_fma_f64 v[4:5], v[11:12], v[21:22], v[0:1]
	v_fma_f64 v[6:7], -v[13:14], v[21:22], v[8:9]
	v_fma_f64 v[8:9], v[11:12], v[21:22], -v[0:1]
	s_delay_alu instid0(VALU_DEP_4) | instskip(NEXT) | instid1(VALU_DEP_4)
	v_fma_f64 v[0:1], -v[11:12], v[19:20], v[2:3]
	v_fma_f64 v[2:3], v[13:14], v[19:20], v[4:5]
	s_delay_alu instid0(VALU_DEP_4) | instskip(NEXT) | instid1(VALU_DEP_4)
	v_fma_f64 v[4:5], v[11:12], v[19:20], v[6:7]
	v_fma_f64 v[6:7], v[13:14], v[19:20], v[8:9]
	ds_store_b128 v66, v[0:3] offset:3024
	ds_store_b128 v10, v[4:7] offset:7056
	ds_load_b128 v[0:3], v66 offset:4032
	ds_load_b128 v[4:7], v10 offset:6048
	s_wait_dscnt 0x0
	v_add_f64_e32 v[8:9], v[0:1], v[4:5]
	v_add_f64_e32 v[11:12], v[6:7], v[2:3]
	v_add_f64_e64 v[13:14], v[0:1], -v[4:5]
	v_add_f64_e64 v[0:1], v[2:3], -v[6:7]
	s_wait_loadcnt 0x0
	s_delay_alu instid0(VALU_DEP_2) | instskip(NEXT) | instid1(VALU_DEP_2)
	v_fma_f64 v[2:3], v[13:14], v[17:18], v[8:9]
	v_fma_f64 v[4:5], v[11:12], v[17:18], v[0:1]
	v_fma_f64 v[6:7], -v[13:14], v[17:18], v[8:9]
	v_fma_f64 v[8:9], v[11:12], v[17:18], -v[0:1]
	s_delay_alu instid0(VALU_DEP_4) | instskip(NEXT) | instid1(VALU_DEP_4)
	v_fma_f64 v[0:1], -v[11:12], v[15:16], v[2:3]
	v_fma_f64 v[2:3], v[13:14], v[15:16], v[4:5]
	s_delay_alu instid0(VALU_DEP_4) | instskip(NEXT) | instid1(VALU_DEP_4)
	v_fma_f64 v[4:5], v[11:12], v[15:16], v[6:7]
	v_fma_f64 v[6:7], v[13:14], v[15:16], v[8:9]
	ds_store_b128 v66, v[0:3] offset:4032
	ds_store_b128 v10, v[4:7] offset:6048
	global_wb scope:SCOPE_SE
	s_wait_dscnt 0x0
	s_barrier_signal -1
	s_barrier_wait -1
	global_inv scope:SCOPE_SE
	global_wb scope:SCOPE_SE
	s_barrier_signal -1
	s_barrier_wait -1
	global_inv scope:SCOPE_SE
	ds_load_b128 v[0:3], v66 offset:6720
	ds_load_b128 v[4:7], v66 offset:3360
	;; [unrolled: 1-line block ×8, first 2 shown]
	ds_load_b128 v[32:35], v66
	ds_load_b128 v[36:39], v66 offset:1008
	ds_load_b128 v[40:43], v66 offset:2016
	ds_load_b128 v[44:47], v66 offset:3024
	global_wb scope:SCOPE_SE
	s_wait_dscnt 0x0
	s_barrier_signal -1
	s_barrier_wait -1
	global_inv scope:SCOPE_SE
	v_add_f64_e32 v[48:49], v[4:5], v[0:1]
	v_add_f64_e32 v[50:51], v[6:7], v[2:3]
	;; [unrolled: 1-line block ×9, first 2 shown]
	v_add_f64_e64 v[77:78], v[6:7], -v[2:3]
	v_add_f64_e32 v[6:7], v[34:35], v[6:7]
	v_add_f64_e32 v[83:84], v[40:41], v[20:21]
	;; [unrolled: 1-line block ×5, first 2 shown]
	v_add_f64_e64 v[22:23], v[22:23], -v[18:19]
	v_add_f64_e64 v[20:21], v[20:21], -v[16:17]
	v_add_f64_e64 v[93:94], v[26:27], -v[30:31]
	v_add_f64_e64 v[95:96], v[24:25], -v[28:29]
	v_add_f64_e32 v[79:80], v[36:37], v[8:9]
	v_add_f64_e32 v[81:82], v[38:39], v[10:11]
	v_add_f64_e64 v[91:92], v[8:9], -v[12:13]
	v_fma_f64 v[32:33], v[48:49], -0.5, v[32:33]
	v_add_f64_e64 v[48:49], v[4:5], -v[0:1]
	v_fma_f64 v[34:35], v[50:51], -0.5, v[34:35]
	;; [unrolled: 2-line block ×3, first 2 shown]
	v_fma_f64 v[67:68], v[67:68], -0.5, v[40:41]
	v_fma_f64 v[69:70], v[69:70], -0.5, v[42:43]
	;; [unrolled: 1-line block ×5, first 2 shown]
	v_add_f64_e32 v[4:5], v[75:76], v[0:1]
	v_add_f64_e32 v[6:7], v[6:7], v[2:3]
	;; [unrolled: 1-line block ×6, first 2 shown]
	v_lshlrev_b32_e32 v0, 5, v58
	v_add_f64_e32 v[12:13], v[79:80], v[12:13]
	v_add_f64_e32 v[14:15], v[81:82], v[14:15]
	s_delay_alu instid0(VALU_DEP_3)
	v_add_nc_u32_e32 v0, v66, v0
	v_fma_f64 v[28:29], v[77:78], s[0:1], v[32:33]
	s_wait_alu 0xfffe
	v_fma_f64 v[32:33], v[77:78], s[4:5], v[32:33]
	v_fma_f64 v[30:31], v[48:49], s[4:5], v[34:35]
	v_fma_f64 v[34:35], v[48:49], s[0:1], v[34:35]
	v_fma_f64 v[36:37], v[50:51], s[0:1], v[52:53]
	v_fma_f64 v[40:41], v[50:51], s[4:5], v[52:53]
	v_fma_f64 v[44:45], v[22:23], s[0:1], v[67:68]
	v_fma_f64 v[48:49], v[22:23], s[4:5], v[67:68]
	v_fma_f64 v[46:47], v[20:21], s[4:5], v[69:70]
	v_fma_f64 v[50:51], v[20:21], s[0:1], v[69:70]
	v_fma_f64 v[16:17], v[93:94], s[0:1], v[71:72]
	v_fma_f64 v[20:21], v[93:94], s[4:5], v[71:72]
	v_fma_f64 v[18:19], v[95:96], s[4:5], v[73:74]
	v_fma_f64 v[22:23], v[95:96], s[0:1], v[73:74]
	v_fma_f64 v[38:39], v[91:92], s[4:5], v[54:55]
	v_fma_f64 v[42:43], v[91:92], s[0:1], v[54:55]
	v_cmp_gt_u32_e64 s0, 21, v58
	ds_store_b128 v0, v[4:7]
	ds_store_b128 v0, v[28:31] offset:16
	ds_store_b128 v0, v[32:35] offset:32
	;; [unrolled: 1-line block ×8, first 2 shown]
	s_and_saveexec_b32 s1, s0
	s_cbranch_execz .LBB0_21
; %bb.20:
	ds_store_b128 v0, v[8:11] offset:9072
	ds_store_b128 v0, v[16:19] offset:9088
	;; [unrolled: 1-line block ×3, first 2 shown]
.LBB0_21:
	s_wait_alu 0xfffe
	s_or_b32 exec_lo, exec_lo, s1
	global_wb scope:SCOPE_SE
	s_wait_dscnt 0x0
	s_barrier_signal -1
	s_barrier_wait -1
	global_inv scope:SCOPE_SE
	ds_load_b128 v[4:7], v66
	ds_load_b128 v[0:3], v66 offset:1008
	ds_load_b128 v[36:39], v66 offset:6720
	;; [unrolled: 1-line block ×8, first 2 shown]
	s_and_saveexec_b32 s1, s0
	s_cbranch_execz .LBB0_23
; %bb.22:
	ds_load_b128 v[8:11], v66 offset:3024
	ds_load_b128 v[16:19], v66 offset:6384
	;; [unrolled: 1-line block ×3, first 2 shown]
.LBB0_23:
	s_wait_alu 0xfffe
	s_or_b32 exec_lo, exec_lo, s1
	v_add_nc_u16 v59, v58, 63
	v_and_b32_e32 v48, 0xff, v58
	v_add_nc_u16 v50, v58, 0x7e
	v_add_nc_u16 v51, v58, 0xbd
	s_mov_b32 s4, 0xe8584caa
	v_and_b32_e32 v67, 0xff, v59
	v_mul_lo_u16 v49, 0xab, v48
	v_and_b32_e32 v52, 0xff, v50
	s_mov_b32 s5, 0x3febb67a
	s_mov_b32 s11, 0xbfebb67a
	v_mul_lo_u16 v53, 0xab, v67
	v_lshrrev_b16 v55, 9, v49
	v_and_b32_e32 v49, 0xff, v51
	v_mul_lo_u16 v52, 0xab, v52
	s_wait_alu 0xfffe
	s_mov_b32 s10, s4
	v_lshrrev_b16 v112, 9, v53
	v_mul_lo_u16 v53, v55, 3
	v_mul_lo_u16 v49, 0xab, v49
	v_lshrrev_b16 v113, 9, v52
	s_delay_alu instid0(VALU_DEP_4) | instskip(NEXT) | instid1(VALU_DEP_4)
	v_mul_lo_u16 v52, v112, 3
	v_sub_nc_u16 v53, v58, v53
	s_delay_alu instid0(VALU_DEP_4) | instskip(NEXT) | instid1(VALU_DEP_4)
	v_lshrrev_b16 v49, 9, v49
	v_mul_lo_u16 v54, v113, 3
	s_delay_alu instid0(VALU_DEP_4) | instskip(NEXT) | instid1(VALU_DEP_4)
	v_sub_nc_u16 v52, v59, v52
	v_and_b32_e32 v114, 0xff, v53
	s_delay_alu instid0(VALU_DEP_4) | instskip(NEXT) | instid1(VALU_DEP_4)
	v_mul_lo_u16 v53, v49, 3
	v_sub_nc_u16 v50, v50, v54
	s_delay_alu instid0(VALU_DEP_4) | instskip(NEXT) | instid1(VALU_DEP_4)
	v_and_b32_e32 v115, 0xff, v52
	v_lshlrev_b32_e32 v68, 5, v114
	s_delay_alu instid0(VALU_DEP_4) | instskip(NEXT) | instid1(VALU_DEP_4)
	v_sub_nc_u16 v72, v51, v53
	v_and_b32_e32 v116, 0xff, v50
	s_clause 0x1
	global_load_b128 v[51:54], v68, s[8:9]
	global_load_b128 v[68:71], v68, s[8:9] offset:16
	v_and_b32_e32 v50, 0xff, v72
	v_lshlrev_b32_e32 v76, 5, v115
	v_lshlrev_b32_e32 v84, 5, v116
	s_clause 0x1
	global_load_b128 v[72:75], v76, s[8:9]
	global_load_b128 v[76:79], v76, s[8:9] offset:16
	v_lshlrev_b32_e32 v92, 5, v50
	s_clause 0x3
	global_load_b128 v[80:83], v84, s[8:9]
	global_load_b128 v[84:87], v84, s[8:9] offset:16
	global_load_b128 v[88:91], v92, s[8:9]
	global_load_b128 v[92:95], v92, s[8:9] offset:16
	global_wb scope:SCOPE_SE
	s_wait_loadcnt_dscnt 0x0
	s_barrier_signal -1
	s_barrier_wait -1
	global_inv scope:SCOPE_SE
	v_mul_f64_e32 v[96:97], v[46:47], v[53:54]
	v_mul_f64_e32 v[98:99], v[38:39], v[70:71]
	;; [unrolled: 1-line block ×16, first 2 shown]
	v_fma_f64 v[44:45], v[44:45], v[51:52], -v[96:97]
	v_fma_f64 v[36:37], v[36:37], v[68:69], -v[98:99]
	v_fma_f64 v[46:47], v[46:47], v[51:52], v[53:54]
	v_fma_f64 v[38:39], v[38:39], v[68:69], v[70:71]
	v_fma_f64 v[40:41], v[40:41], v[72:73], -v[100:101]
	v_fma_f64 v[51:52], v[24:25], v[76:77], -v[102:103]
	v_fma_f64 v[42:43], v[42:43], v[72:73], v[74:75]
	v_fma_f64 v[53:54], v[26:27], v[76:77], v[78:79]
	;; [unrolled: 4-line block ×4, first 2 shown]
	v_add_f64_e32 v[80:81], v[4:5], v[44:45]
	v_add_f64_e32 v[22:23], v[44:45], v[36:37]
	;; [unrolled: 1-line block ×3, first 2 shown]
	v_add_f64_e64 v[82:83], v[46:47], -v[38:39]
	v_add_f64_e32 v[46:47], v[6:7], v[46:47]
	v_add_f64_e32 v[84:85], v[0:1], v[40:41]
	;; [unrolled: 1-line block ×6, first 2 shown]
	v_add_f64_e64 v[96:97], v[24:25], -v[16:17]
	v_add_f64_e32 v[78:79], v[20:21], v[18:19]
	v_add_f64_e32 v[88:89], v[12:13], v[26:27]
	;; [unrolled: 1-line block ×5, first 2 shown]
	v_add_f64_e64 v[94:95], v[20:21], -v[18:19]
	v_add_f64_e64 v[92:93], v[26:27], -v[32:33]
	v_fma_f64 v[4:5], v[22:23], -0.5, v[4:5]
	v_add_f64_e64 v[22:23], v[44:45], -v[36:37]
	v_fma_f64 v[6:7], v[30:31], -0.5, v[6:7]
	v_add_f64_e64 v[44:45], v[42:43], -v[53:54]
	v_add_f64_e32 v[26:27], v[84:85], v[51:52]
	v_fma_f64 v[0:1], v[68:69], -0.5, v[0:1]
	v_add_f64_e64 v[68:69], v[40:41], -v[51:52]
	v_fma_f64 v[2:3], v[70:71], -0.5, v[2:3]
	v_add_f64_e64 v[70:71], v[28:29], -v[34:35]
	v_fma_f64 v[76:77], v[76:77], -0.5, v[8:9]
	v_add_f64_e32 v[28:29], v[86:87], v[53:54]
	v_fma_f64 v[78:79], v[78:79], -0.5, v[10:11]
	v_add_f64_e32 v[30:31], v[88:89], v[32:33]
	v_fma_f64 v[72:73], v[72:73], -0.5, v[12:13]
	v_add_f64_e32 v[12:13], v[80:81], v[36:37]
	v_fma_f64 v[74:75], v[74:75], -0.5, v[14:15]
	v_add_f64_e32 v[14:15], v[46:47], v[38:39]
	v_add_f64_e32 v[32:33], v[90:91], v[34:35]
	v_lshlrev_b32_e32 v47, 4, v114
	v_and_b32_e32 v46, 0xffff, v113
	s_delay_alu instid0(VALU_DEP_1)
	v_mul_u32_u24_e32 v46, 0x90, v46
	v_fma_f64 v[34:35], v[82:83], s[4:5], v[4:5]
	s_wait_alu 0xfffe
	v_fma_f64 v[38:39], v[82:83], s[10:11], v[4:5]
	v_fma_f64 v[36:37], v[22:23], s[10:11], v[6:7]
	;; [unrolled: 1-line block ×3, first 2 shown]
	v_and_b32_e32 v22, 0xffff, v55
	v_and_b32_e32 v23, 0xffff, v112
	v_lshlrev_b32_e32 v55, 4, v116
	v_fma_f64 v[42:43], v[44:45], s[4:5], v[0:1]
	v_fma_f64 v[51:52], v[44:45], s[10:11], v[0:1]
	v_fma_f64 v[44:45], v[68:69], s[10:11], v[2:3]
	v_fma_f64 v[53:54], v[68:69], s[4:5], v[2:3]
	v_fma_f64 v[0:1], v[94:95], s[4:5], v[76:77]
	v_fma_f64 v[4:5], v[94:95], s[10:11], v[76:77]
	v_fma_f64 v[2:3], v[96:97], s[10:11], v[78:79]
	v_fma_f64 v[6:7], v[96:97], s[4:5], v[78:79]
	v_fma_f64 v[68:69], v[70:71], s[4:5], v[72:73]
	v_fma_f64 v[72:73], v[70:71], s[10:11], v[72:73]
	v_fma_f64 v[70:71], v[92:93], s[10:11], v[74:75]
	v_fma_f64 v[74:75], v[92:93], s[4:5], v[74:75]
	v_mul_u32_u24_e32 v22, 0x90, v22
	v_mul_u32_u24_e32 v23, 0x90, v23
	v_add3_u32 v46, 0, v46, v55
	s_delay_alu instid0(VALU_DEP_3) | instskip(SKIP_1) | instid1(VALU_DEP_1)
	v_add3_u32 v22, 0, v22, v47
	v_lshlrev_b32_e32 v47, 4, v115
	v_add3_u32 v23, 0, v23, v47
	ds_store_b128 v22, v[12:15]
	ds_store_b128 v22, v[34:37] offset:48
	ds_store_b128 v22, v[38:41] offset:96
	ds_store_b128 v23, v[26:29]
	ds_store_b128 v23, v[42:45] offset:48
	ds_store_b128 v23, v[51:54] offset:96
	;; [unrolled: 3-line block ×3, first 2 shown]
	s_and_saveexec_b32 s1, s0
	s_cbranch_execz .LBB0_25
; %bb.24:
	v_add_f64_e32 v[10:11], v[10:11], v[20:21]
	v_add_f64_e32 v[8:9], v[8:9], v[24:25]
	v_and_b32_e32 v12, 0xffff, v49
	v_lshlrev_b32_e32 v13, 4, v50
	s_delay_alu instid0(VALU_DEP_2) | instskip(NEXT) | instid1(VALU_DEP_1)
	v_mul_u32_u24_e32 v12, 0x90, v12
	v_add3_u32 v12, 0, v12, v13
	v_add_f64_e32 v[10:11], v[10:11], v[18:19]
	v_add_f64_e32 v[8:9], v[8:9], v[16:17]
	ds_store_b128 v12, v[8:11]
	ds_store_b128 v12, v[0:3] offset:48
	ds_store_b128 v12, v[4:7] offset:96
.LBB0_25:
	s_wait_alu 0xfffe
	s_or_b32 exec_lo, exec_lo, s1
	v_mul_lo_u16 v8, v48, 57
	global_wb scope:SCOPE_SE
	s_wait_dscnt 0x0
	s_barrier_signal -1
	s_barrier_wait -1
	global_inv scope:SCOPE_SE
	v_lshrrev_b16 v124, 9, v8
	v_mul_lo_u16 v8, v67, 57
	s_mov_b32 s0, 0x134454ff
	s_mov_b32 s1, 0x3fee6f0e
	;; [unrolled: 1-line block ×3, first 2 shown]
	v_mul_lo_u16 v9, v124, 9
	v_lshrrev_b16 v125, 9, v8
	s_wait_alu 0xfffe
	s_mov_b32 s4, s0
	s_delay_alu instid0(VALU_DEP_2) | instskip(NEXT) | instid1(VALU_DEP_2)
	v_sub_nc_u16 v8, v58, v9
	v_mul_lo_u16 v9, v125, 9
	s_delay_alu instid0(VALU_DEP_2) | instskip(NEXT) | instid1(VALU_DEP_2)
	v_and_b32_e32 v126, 0xff, v8
	v_sub_nc_u16 v8, v59, v9
	s_delay_alu instid0(VALU_DEP_2) | instskip(NEXT) | instid1(VALU_DEP_2)
	v_lshlrev_b32_e32 v20, 6, v126
	v_and_b32_e32 v127, 0xff, v8
	s_clause 0x2
	global_load_b128 v[8:11], v20, s[8:9] offset:96
	global_load_b128 v[12:15], v20, s[8:9] offset:112
	;; [unrolled: 1-line block ×3, first 2 shown]
	v_lshlrev_b32_e32 v36, 6, v127
	s_clause 0x4
	global_load_b128 v[20:23], v20, s[8:9] offset:144
	global_load_b128 v[24:27], v36, s[8:9] offset:96
	;; [unrolled: 1-line block ×5, first 2 shown]
	ds_load_b128 v[40:43], v66 offset:2016
	ds_load_b128 v[44:47], v66 offset:4032
	;; [unrolled: 1-line block ×8, first 2 shown]
	s_wait_loadcnt_dscnt 0x707
	v_mul_f64_e32 v[84:85], v[42:43], v[10:11]
	s_wait_loadcnt_dscnt 0x606
	v_mul_f64_e32 v[86:87], v[46:47], v[14:15]
	;; [unrolled: 2-line block ×3, first 2 shown]
	v_mul_f64_e32 v[14:15], v[44:45], v[14:15]
	v_mul_f64_e32 v[18:19], v[48:49], v[18:19]
	;; [unrolled: 1-line block ×3, first 2 shown]
	s_wait_loadcnt_dscnt 0x404
	v_mul_f64_e32 v[90:91], v[54:55], v[22:23]
	v_mul_f64_e32 v[22:23], v[52:53], v[22:23]
	s_wait_loadcnt_dscnt 0x202
	v_mul_f64_e32 v[94:95], v[74:75], v[30:31]
	s_wait_loadcnt_dscnt 0x101
	v_mul_f64_e32 v[96:97], v[78:79], v[34:35]
	v_mul_f64_e32 v[30:31], v[72:73], v[30:31]
	;; [unrolled: 1-line block ×4, first 2 shown]
	s_wait_loadcnt_dscnt 0x0
	v_mul_f64_e32 v[98:99], v[82:83], v[38:39]
	v_mul_f64_e32 v[26:27], v[68:69], v[26:27]
	;; [unrolled: 1-line block ×3, first 2 shown]
	v_fma_f64 v[40:41], v[40:41], v[8:9], -v[84:85]
	v_fma_f64 v[44:45], v[44:45], v[12:13], -v[86:87]
	;; [unrolled: 1-line block ×3, first 2 shown]
	v_fma_f64 v[46:47], v[46:47], v[12:13], v[14:15]
	v_fma_f64 v[16:17], v[50:51], v[16:17], v[18:19]
	;; [unrolled: 1-line block ×3, first 2 shown]
	v_fma_f64 v[52:53], v[52:53], v[20:21], -v[90:91]
	v_fma_f64 v[18:19], v[54:55], v[20:21], v[22:23]
	v_fma_f64 v[22:23], v[72:73], v[28:29], -v[94:95]
	v_fma_f64 v[50:51], v[76:77], v[32:33], -v[96:97]
	v_fma_f64 v[28:29], v[74:75], v[28:29], v[30:31]
	v_fma_f64 v[32:33], v[78:79], v[32:33], v[34:35]
	v_fma_f64 v[20:21], v[68:69], v[24:25], -v[92:93]
	v_fma_f64 v[30:31], v[80:81], v[36:37], -v[98:99]
	v_fma_f64 v[24:25], v[70:71], v[24:25], v[26:27]
	v_fma_f64 v[26:27], v[82:83], v[36:37], v[38:39]
	ds_load_b128 v[8:11], v66
	ds_load_b128 v[12:15], v66 offset:1008
	global_wb scope:SCOPE_SE
	s_wait_dscnt 0x0
	s_barrier_signal -1
	s_barrier_wait -1
	global_inv scope:SCOPE_SE
	v_add_f64_e32 v[76:77], v[8:9], v[40:41]
	v_add_f64_e32 v[34:35], v[44:45], v[48:49]
	;; [unrolled: 1-line block ×6, first 2 shown]
	v_add_f64_e64 v[78:79], v[42:43], -v[18:19]
	v_add_f64_e32 v[68:69], v[22:23], v[50:51]
	v_add_f64_e64 v[88:89], v[40:41], -v[52:53]
	v_add_f64_e32 v[72:73], v[28:29], v[32:33]
	v_add_f64_e32 v[84:85], v[12:13], v[20:21]
	;; [unrolled: 1-line block ×5, first 2 shown]
	v_add_f64_e64 v[80:81], v[46:47], -v[16:17]
	v_add_f64_e64 v[90:91], v[24:25], -v[26:27]
	;; [unrolled: 1-line block ×17, first 2 shown]
	v_fma_f64 v[34:35], v[34:35], -0.5, v[8:9]
	v_fma_f64 v[38:39], v[38:39], -0.5, v[10:11]
	v_add_f64_e32 v[46:47], v[82:83], v[46:47]
	v_fma_f64 v[8:9], v[36:37], -0.5, v[8:9]
	v_add_f64_e64 v[36:37], v[44:45], -v[48:49]
	v_fma_f64 v[10:11], v[54:55], -0.5, v[10:11]
	v_fma_f64 v[68:69], v[68:69], -0.5, v[12:13]
	v_add_f64_e64 v[54:55], v[28:29], -v[32:33]
	v_fma_f64 v[72:73], v[72:73], -0.5, v[14:15]
	;; [unrolled: 3-line block ×3, first 2 shown]
	v_add_f64_e64 v[74:75], v[40:41], -v[44:45]
	v_add_f64_e64 v[40:41], v[44:45], -v[40:41]
	v_add_f64_e32 v[44:45], v[76:77], v[44:45]
	v_add_f64_e32 v[22:23], v[84:85], v[22:23]
	;; [unrolled: 1-line block ×5, first 2 shown]
	v_fma_f64 v[76:77], v[78:79], s[0:1], v[34:35]
	s_wait_alu 0xfffe
	v_fma_f64 v[34:35], v[78:79], s[4:5], v[34:35]
	v_fma_f64 v[84:85], v[88:89], s[4:5], v[38:39]
	;; [unrolled: 1-line block ×15, first 2 shown]
	s_mov_b32 s0, 0x4755a5e
	s_mov_b32 s1, 0x3fe2cf23
	;; [unrolled: 1-line block ×3, first 2 shown]
	s_wait_alu 0xfffe
	s_mov_b32 s4, s0
	v_add_f64_e32 v[74:75], v[74:75], v[94:95]
	v_add_f64_e32 v[94:95], v[98:99], v[100:101]
	;; [unrolled: 1-line block ×10, first 2 shown]
	v_fma_f64 v[32:33], v[80:81], s[0:1], v[76:77]
	s_wait_alu 0xfffe
	v_fma_f64 v[34:35], v[80:81], s[4:5], v[34:35]
	v_fma_f64 v[46:47], v[36:37], s[4:5], v[84:85]
	;; [unrolled: 1-line block ×15, first 2 shown]
	s_mov_b32 s0, 0x372fe950
	s_mov_b32 s1, 0x3fd3c6ef
	v_add_f64_e32 v[20:21], v[20:21], v[52:53]
	v_add_f64_e32 v[22:23], v[16:17], v[18:19]
	;; [unrolled: 1-line block ×4, first 2 shown]
	s_wait_alu 0xfffe
	v_fma_f64 v[28:29], v[74:75], s[0:1], v[32:33]
	v_fma_f64 v[32:33], v[74:75], s[0:1], v[34:35]
	v_fma_f64 v[30:31], v[94:95], s[0:1], v[46:47]
	v_fma_f64 v[34:35], v[94:95], s[0:1], v[38:39]
	v_fma_f64 v[36:37], v[40:41], s[0:1], v[44:45]
	v_fma_f64 v[40:41], v[40:41], s[0:1], v[8:9]
	v_fma_f64 v[38:39], v[42:43], s[0:1], v[48:49]
	v_fma_f64 v[42:43], v[42:43], s[0:1], v[10:11]
	v_fma_f64 v[44:45], v[96:97], s[0:1], v[50:51]
	v_fma_f64 v[46:47], v[100:101], s[0:1], v[76:77]
	v_fma_f64 v[16:17], v[96:97], s[0:1], v[54:55]
	v_fma_f64 v[8:9], v[98:99], s[0:1], v[68:69]
	v_fma_f64 v[12:13], v[98:99], s[0:1], v[12:13]
	v_fma_f64 v[10:11], v[102:103], s[0:1], v[78:79]
	v_fma_f64 v[14:15], v[102:103], s[0:1], v[14:15]
	v_fma_f64 v[18:19], v[100:101], s[0:1], v[70:71]
	v_and_b32_e32 v48, 0xffff, v124
	v_and_b32_e32 v49, 0xffff, v125
	v_lshlrev_b32_e32 v50, 4, v126
	v_lshlrev_b32_e32 v51, 4, v127
	v_cmp_gt_u32_e64 s0, 27, v58
	v_mul_u32_u24_e32 v48, 0x2d0, v48
	v_mul_u32_u24_e32 v49, 0x2d0, v49
	s_delay_alu instid0(VALU_DEP_2) | instskip(NEXT) | instid1(VALU_DEP_2)
	v_add3_u32 v48, 0, v48, v50
	v_add3_u32 v49, 0, v49, v51
	ds_store_b128 v48, v[20:23]
	ds_store_b128 v48, v[28:31] offset:144
	ds_store_b128 v48, v[36:39] offset:288
	;; [unrolled: 1-line block ×4, first 2 shown]
	ds_store_b128 v49, v[24:27]
	ds_store_b128 v49, v[44:47] offset:144
	ds_store_b128 v49, v[8:11] offset:288
	;; [unrolled: 1-line block ×4, first 2 shown]
	global_wb scope:SCOPE_SE
	s_wait_dscnt 0x0
	s_barrier_signal -1
	s_barrier_wait -1
	global_inv scope:SCOPE_SE
	ds_load_b128 v[28:31], v66
	ds_load_b128 v[48:51], v66 offset:1440
	ds_load_b128 v[44:47], v66 offset:2880
	;; [unrolled: 1-line block ×6, first 2 shown]
                                        ; implicit-def: $vgpr26_vgpr27
                                        ; implicit-def: $vgpr22_vgpr23
	s_and_saveexec_b32 s1, s0
	s_cbranch_execz .LBB0_27
; %bb.26:
	ds_load_b128 v[8:11], v66 offset:1008
	ds_load_b128 v[12:15], v66 offset:2448
	;; [unrolled: 1-line block ×7, first 2 shown]
.LBB0_27:
	s_wait_alu 0xfffe
	s_or_b32 exec_lo, exec_lo, s1
	v_subrev_nc_u32_e32 v68, 45, v58
	v_cmp_gt_u32_e64 s1, 45, v58
	v_mov_b32_e32 v69, 0
	s_mov_b32 s10, 0x37e14327
	s_mov_b32 s12, 0xe976ee23
	;; [unrolled: 1-line block ×3, first 2 shown]
	s_wait_alu 0xf1ff
	v_cndmask_b32_e64 v104, v68, v58, s1
	s_mov_b32 s13, 0xbfe11646
	s_mov_b32 s4, 0x429ad128
	;; [unrolled: 1-line block ×4, first 2 shown]
	v_mul_i32_i24_e32 v68, 6, v104
	s_mov_b32 s19, 0x3fac98ee
	s_mov_b32 s14, 0xaaaaaaaa
	s_mov_b32 s22, 0xb247c609
	s_mov_b32 s15, 0xbff2aaaa
	v_lshlrev_b64_e32 v[68:69], 4, v[68:69]
	s_mov_b32 s16, 0x5476071b
	s_mov_b32 s23, 0x3fd5d0dc
	;; [unrolled: 1-line block ×5, first 2 shown]
	v_add_co_u32 v88, s1, s8, v68
	s_wait_alu 0xf1ff
	v_add_co_ci_u32_e64 v89, s1, s9, v69, s1
	s_mov_b32 s20, s16
	s_mov_b32 s24, s22
	s_clause 0x5
	global_load_b128 v[68:71], v[88:89], off offset:672
	global_load_b128 v[72:75], v[88:89], off offset:688
	;; [unrolled: 1-line block ×6, first 2 shown]
	s_mov_b32 s26, 0x37c3f68c
	s_mov_b32 s27, 0x3fdc38aa
	v_cmp_lt_u32_e64 s1, 44, v58
	global_wb scope:SCOPE_SE
	s_wait_loadcnt_dscnt 0x0
	s_barrier_signal -1
	s_barrier_wait -1
	global_inv scope:SCOPE_SE
	v_mul_f64_e32 v[92:93], v[50:51], v[70:71]
	v_mul_f64_e32 v[70:71], v[48:49], v[70:71]
	;; [unrolled: 1-line block ×12, first 2 shown]
	v_fma_f64 v[48:49], v[48:49], v[68:69], -v[92:93]
	v_fma_f64 v[50:51], v[50:51], v[68:69], v[70:71]
	v_fma_f64 v[44:45], v[44:45], v[72:73], -v[94:95]
	v_fma_f64 v[46:47], v[46:47], v[72:73], v[74:75]
	;; [unrolled: 2-line block ×6, first 2 shown]
	v_add_f64_e32 v[68:69], v[48:49], v[52:53]
	v_add_f64_e32 v[70:71], v[50:51], v[54:55]
	;; [unrolled: 1-line block ×4, first 2 shown]
	v_add_f64_e64 v[40:41], v[44:45], -v[40:41]
	v_add_f64_e64 v[42:43], v[46:47], -v[42:43]
	v_add_f64_e32 v[44:45], v[36:37], v[32:33]
	v_add_f64_e32 v[46:47], v[38:39], v[34:35]
	v_add_f64_e64 v[32:33], v[32:33], -v[36:37]
	v_add_f64_e64 v[34:35], v[34:35], -v[38:39]
	;; [unrolled: 1-line block ×4, first 2 shown]
	v_add_f64_e32 v[48:49], v[72:73], v[68:69]
	v_add_f64_e32 v[50:51], v[74:75], v[70:71]
	v_add_f64_e64 v[52:53], v[68:69], -v[44:45]
	v_add_f64_e64 v[54:55], v[70:71], -v[46:47]
	;; [unrolled: 1-line block ×6, first 2 shown]
	v_add_f64_e32 v[40:41], v[32:33], v[40:41]
	v_add_f64_e32 v[42:43], v[34:35], v[42:43]
	v_add_f64_e64 v[32:33], v[36:37], -v[32:33]
	v_add_f64_e64 v[34:35], v[38:39], -v[34:35]
	;; [unrolled: 1-line block ×4, first 2 shown]
	v_add_f64_e32 v[48:49], v[44:45], v[48:49]
	v_add_f64_e32 v[50:51], v[46:47], v[50:51]
	v_add_f64_e64 v[44:45], v[44:45], -v[72:73]
	v_add_f64_e64 v[46:47], v[46:47], -v[74:75]
	s_wait_alu 0xfffe
	v_mul_f64_e32 v[52:53], s[10:11], v[52:53]
	v_mul_f64_e32 v[54:55], s[10:11], v[54:55]
	;; [unrolled: 1-line block ×6, first 2 shown]
	v_add_f64_e32 v[36:37], v[40:41], v[36:37]
	v_add_f64_e32 v[38:39], v[42:43], v[38:39]
	;; [unrolled: 1-line block ×4, first 2 shown]
	v_mul_f64_e32 v[72:73], s[18:19], v[44:45]
	v_mul_f64_e32 v[74:75], s[18:19], v[46:47]
	v_fma_f64 v[40:41], v[44:45], s[18:19], v[52:53]
	v_fma_f64 v[42:43], v[46:47], s[18:19], v[54:55]
	;; [unrolled: 1-line block ×4, first 2 shown]
	v_fma_f64 v[76:77], v[80:81], s[4:5], -v[76:77]
	v_fma_f64 v[78:79], v[82:83], s[4:5], -v[78:79]
	;; [unrolled: 1-line block ×6, first 2 shown]
	v_fma_f64 v[48:49], v[48:49], s[14:15], v[28:29]
	v_fma_f64 v[50:51], v[50:51], s[14:15], v[30:31]
	v_fma_f64 v[68:69], v[68:69], s[16:17], -v[72:73]
	v_fma_f64 v[70:71], v[70:71], s[16:17], -v[74:75]
	v_fma_f64 v[72:73], v[36:37], s[26:27], v[44:45]
	v_fma_f64 v[74:75], v[38:39], s[26:27], v[46:47]
	;; [unrolled: 1-line block ×6, first 2 shown]
	v_add_f64_e32 v[80:81], v[40:41], v[48:49]
	v_add_f64_e32 v[82:83], v[42:43], v[50:51]
	;; [unrolled: 1-line block ×6, first 2 shown]
	s_wait_alu 0xf1ff
	v_cndmask_b32_e64 v68, 0, 0x13b0, s1
	v_lshlrev_b32_e32 v69, 4, v104
	s_delay_alu instid0(VALU_DEP_1)
	v_add3_u32 v68, 0, v68, v69
	v_add_f64_e32 v[32:33], v[74:75], v[80:81]
	v_add_f64_e64 v[34:35], v[82:83], -v[72:73]
	v_add_f64_e32 v[36:37], v[78:79], v[52:53]
	v_add_f64_e64 v[38:39], v[54:55], -v[76:77]
	v_add_f64_e64 v[40:41], v[48:49], -v[44:45]
	v_add_f64_e32 v[42:43], v[46:47], v[50:51]
	v_add_f64_e32 v[44:45], v[44:45], v[48:49]
	v_add_f64_e64 v[46:47], v[50:51], -v[46:47]
	v_add_f64_e64 v[48:49], v[52:53], -v[78:79]
	v_add_f64_e32 v[50:51], v[76:77], v[54:55]
	v_add_f64_e64 v[52:53], v[80:81], -v[74:75]
	v_add_f64_e32 v[54:55], v[72:73], v[82:83]
	ds_store_b128 v68, v[28:31]
	ds_store_b128 v68, v[32:35] offset:720
	ds_store_b128 v68, v[36:39] offset:1440
	;; [unrolled: 1-line block ×6, first 2 shown]
	s_and_saveexec_b32 s1, s0
	s_cbranch_execz .LBB0_29
; %bb.28:
	v_mul_lo_u16 v28, 0x6d, v67
	s_delay_alu instid0(VALU_DEP_1) | instskip(NEXT) | instid1(VALU_DEP_1)
	v_lshrrev_b16 v28, 8, v28
	v_sub_nc_u16 v29, v59, v28
	s_delay_alu instid0(VALU_DEP_1) | instskip(NEXT) | instid1(VALU_DEP_1)
	v_lshrrev_b16 v29, 1, v29
	v_and_b32_e32 v29, 0x7f, v29
	s_delay_alu instid0(VALU_DEP_1) | instskip(NEXT) | instid1(VALU_DEP_1)
	v_add_nc_u16 v28, v29, v28
	v_lshrrev_b16 v28, 5, v28
	s_delay_alu instid0(VALU_DEP_1) | instskip(NEXT) | instid1(VALU_DEP_1)
	v_mul_lo_u16 v28, v28, 45
	v_sub_nc_u16 v28, v59, v28
	s_delay_alu instid0(VALU_DEP_1) | instskip(NEXT) | instid1(VALU_DEP_1)
	v_and_b32_e32 v59, 0xff, v28
	v_mul_u32_u24_e32 v28, 6, v59
	s_delay_alu instid0(VALU_DEP_1)
	v_lshlrev_b32_e32 v48, 4, v28
	s_clause 0x5
	global_load_b128 v[28:31], v48, s[8:9] offset:688
	global_load_b128 v[32:35], v48, s[8:9] offset:736
	;; [unrolled: 1-line block ×6, first 2 shown]
	s_wait_loadcnt 0x5
	v_mul_f64_e32 v[52:53], v[16:17], v[30:31]
	s_wait_loadcnt 0x4
	v_mul_f64_e32 v[54:55], v[20:21], v[34:35]
	;; [unrolled: 2-line block ×4, first 2 shown]
	v_mul_f64_e32 v[30:31], v[18:19], v[30:31]
	v_mul_f64_e32 v[34:35], v[22:23], v[34:35]
	;; [unrolled: 1-line block ×4, first 2 shown]
	s_wait_loadcnt 0x1
	v_mul_f64_e32 v[71:72], v[6:7], v[46:47]
	s_wait_loadcnt 0x0
	v_mul_f64_e32 v[73:74], v[2:3], v[50:51]
	v_mul_f64_e32 v[50:51], v[0:1], v[50:51]
	;; [unrolled: 1-line block ×3, first 2 shown]
	v_fma_f64 v[18:19], v[18:19], v[28:29], v[52:53]
	v_fma_f64 v[22:23], v[22:23], v[32:33], v[54:55]
	;; [unrolled: 1-line block ×4, first 2 shown]
	v_fma_f64 v[16:17], v[16:17], v[28:29], -v[30:31]
	v_fma_f64 v[20:21], v[20:21], v[32:33], -v[34:35]
	;; [unrolled: 1-line block ×6, first 2 shown]
	v_fma_f64 v[2:3], v[2:3], v[48:49], v[50:51]
	v_fma_f64 v[6:7], v[6:7], v[44:45], v[46:47]
	v_add_f64_e32 v[28:29], v[18:19], v[22:23]
	v_add_f64_e32 v[30:31], v[14:15], v[26:27]
	v_add_f64_e64 v[14:15], v[14:15], -v[26:27]
	v_add_f64_e32 v[32:33], v[16:17], v[20:21]
	v_add_f64_e64 v[16:17], v[16:17], -v[20:21]
	v_add_f64_e32 v[34:35], v[12:13], v[24:25]
	v_add_f64_e64 v[36:37], v[4:5], -v[0:1]
	v_add_f64_e32 v[0:1], v[0:1], v[4:5]
	v_add_f64_e32 v[20:21], v[2:3], v[6:7]
	v_add_f64_e64 v[4:5], v[12:13], -v[24:25]
	v_add_f64_e64 v[2:3], v[6:7], -v[2:3]
	;; [unrolled: 1-line block ×3, first 2 shown]
	v_add_f64_e32 v[12:13], v[28:29], v[30:31]
	v_add_f64_e32 v[18:19], v[32:33], v[34:35]
	v_add_f64_e64 v[22:23], v[36:37], -v[16:17]
	v_add_f64_e64 v[26:27], v[34:35], -v[0:1]
	;; [unrolled: 1-line block ×7, first 2 shown]
	v_add_f64_e32 v[16:17], v[36:37], v[16:17]
	v_add_f64_e64 v[36:37], v[4:5], -v[36:37]
	v_add_f64_e32 v[6:7], v[2:3], v[6:7]
	v_add_f64_e64 v[48:49], v[14:15], -v[2:3]
	;; [unrolled: 2-line block ×3, first 2 shown]
	v_add_f64_e32 v[18:19], v[0:1], v[18:19]
	v_mul_f64_e32 v[22:23], s[12:13], v[22:23]
	v_mul_f64_e32 v[26:27], s[10:11], v[26:27]
	;; [unrolled: 1-line block ×4, first 2 shown]
	v_add_f64_e32 v[4:5], v[16:17], v[4:5]
	v_add_f64_e32 v[6:7], v[6:7], v[14:15]
	v_add_f64_e32 v[2:3], v[10:11], v[12:13]
	v_add_f64_e64 v[10:11], v[28:29], -v[30:31]
	v_mul_f64_e32 v[28:29], s[18:19], v[20:21]
	v_mul_f64_e32 v[30:31], s[12:13], v[40:41]
	v_add_f64_e32 v[0:1], v[8:9], v[18:19]
	v_mul_f64_e32 v[40:41], s[4:5], v[42:43]
	v_add_f64_e64 v[8:9], v[32:33], -v[34:35]
	v_mul_f64_e32 v[32:33], s[18:19], v[44:45]
	v_fma_f64 v[14:15], v[36:37], s[22:23], v[22:23]
	v_fma_f64 v[16:17], v[20:21], s[18:19], v[24:25]
	;; [unrolled: 1-line block ×3, first 2 shown]
	v_fma_f64 v[34:35], v[36:37], s[24:25], -v[46:47]
	v_fma_f64 v[22:23], v[38:39], s[4:5], -v[22:23]
	v_fma_f64 v[12:13], v[12:13], s[14:15], v[2:3]
	v_fma_f64 v[24:25], v[10:11], s[20:21], -v[24:25]
	v_fma_f64 v[10:11], v[10:11], s[16:17], -v[28:29]
	v_fma_f64 v[28:29], v[48:49], s[22:23], v[30:31]
	v_fma_f64 v[18:19], v[18:19], s[14:15], v[0:1]
	v_fma_f64 v[36:37], v[48:49], s[24:25], -v[40:41]
	v_fma_f64 v[26:27], v[8:9], s[20:21], -v[26:27]
	;; [unrolled: 1-line block ×4, first 2 shown]
	v_fma_f64 v[32:33], v[4:5], s[26:27], v[14:15]
	v_fma_f64 v[34:35], v[4:5], s[26:27], v[34:35]
	;; [unrolled: 1-line block ×3, first 2 shown]
	v_add_f64_e32 v[16:17], v[16:17], v[12:13]
	v_add_f64_e32 v[22:23], v[24:25], v[12:13]
	v_add_f64_e32 v[12:13], v[10:11], v[12:13]
	v_fma_f64 v[28:29], v[6:7], s[26:27], v[28:29]
	v_add_f64_e32 v[38:39], v[20:21], v[18:19]
	v_fma_f64 v[36:37], v[6:7], s[26:27], v[36:37]
	v_add_f64_e32 v[40:41], v[26:27], v[18:19]
	;; [unrolled: 2-line block ×3, first 2 shown]
	v_add_f64_e64 v[26:27], v[16:17], -v[32:33]
	v_add_f64_e32 v[10:11], v[34:35], v[22:23]
	v_add_f64_e64 v[22:23], v[22:23], -v[34:35]
	v_add_f64_e32 v[6:7], v[32:33], v[16:17]
	v_add_f64_e32 v[24:25], v[28:29], v[38:39]
	;; [unrolled: 1-line block ×4, first 2 shown]
	v_add_f64_e64 v[14:15], v[12:13], -v[4:5]
	v_add_f64_e64 v[16:17], v[8:9], -v[30:31]
	v_add_f64_e32 v[12:13], v[30:31], v[8:9]
	v_add_f64_e64 v[8:9], v[40:41], -v[36:37]
	v_add_f64_e64 v[4:5], v[38:39], -v[28:29]
	v_lshl_add_u32 v28, v59, 4, 0
	ds_store_b128 v28, v[0:3] offset:5040
	ds_store_b128 v28, v[24:27] offset:5760
	;; [unrolled: 1-line block ×7, first 2 shown]
.LBB0_29:
	s_wait_alu 0xfffe
	s_or_b32 exec_lo, exec_lo, s1
	v_add_co_u32 v0, s0, s8, v62
	s_wait_alu 0xf1ff
	v_add_co_ci_u32_e64 v1, s0, s9, v63, s0
	v_add_co_u32 v16, s0, s8, v64
	s_wait_alu 0xf1ff
	v_add_co_ci_u32_e64 v17, s0, s9, v65, s0
	global_wb scope:SCOPE_SE
	s_wait_dscnt 0x0
	s_barrier_signal -1
	s_barrier_wait -1
	global_inv scope:SCOPE_SE
	s_clause 0x4
	global_load_b128 v[0:3], v[0:1], off offset:4992
	global_load_b128 v[4:7], v[16:17], off offset:6000
	;; [unrolled: 1-line block ×5, first 2 shown]
	ds_load_b128 v[20:23], v66 offset:5040
	ds_load_b128 v[24:27], v66 offset:6048
	ds_load_b128 v[28:31], v66 offset:7056
	ds_load_b128 v[32:35], v66 offset:8064
	ds_load_b128 v[36:39], v66 offset:9072
	ds_load_b128 v[40:43], v66 offset:4032
	s_wait_loadcnt_dscnt 0x405
	v_mul_f64_e32 v[44:45], v[22:23], v[2:3]
	v_mul_f64_e32 v[2:3], v[20:21], v[2:3]
	s_wait_loadcnt_dscnt 0x304
	v_mul_f64_e32 v[46:47], v[26:27], v[6:7]
	v_mul_f64_e32 v[6:7], v[24:25], v[6:7]
	;; [unrolled: 3-line block ×5, first 2 shown]
	v_fma_f64 v[20:21], v[20:21], v[0:1], -v[44:45]
	v_fma_f64 v[22:23], v[22:23], v[0:1], v[2:3]
	v_fma_f64 v[24:25], v[24:25], v[4:5], -v[46:47]
	v_fma_f64 v[26:27], v[26:27], v[4:5], v[6:7]
	;; [unrolled: 2-line block ×5, first 2 shown]
	ds_load_b128 v[0:3], v66
	ds_load_b128 v[4:7], v66 offset:1008
	ds_load_b128 v[8:11], v66 offset:2016
	;; [unrolled: 1-line block ×3, first 2 shown]
	global_wb scope:SCOPE_SE
	s_wait_dscnt 0x0
	s_barrier_signal -1
	s_barrier_wait -1
	global_inv scope:SCOPE_SE
	v_add_f64_e64 v[16:17], v[0:1], -v[20:21]
	v_add_f64_e64 v[18:19], v[2:3], -v[22:23]
	;; [unrolled: 1-line block ×10, first 2 shown]
	v_fma_f64 v[0:1], v[0:1], 2.0, -v[16:17]
	v_fma_f64 v[2:3], v[2:3], 2.0, -v[18:19]
	;; [unrolled: 1-line block ×10, first 2 shown]
	ds_store_b128 v66, v[20:23] offset:6048
	ds_store_b128 v66, v[24:27] offset:7056
	;; [unrolled: 1-line block ×4, first 2 shown]
	ds_store_b128 v66, v[0:3]
	ds_store_b128 v66, v[4:7] offset:1008
	ds_store_b128 v66, v[8:11] offset:2016
	;; [unrolled: 1-line block ×5, first 2 shown]
	global_wb scope:SCOPE_SE
	s_wait_dscnt 0x0
	s_barrier_signal -1
	s_barrier_wait -1
	global_inv scope:SCOPE_SE
	s_and_saveexec_b32 s0, vcc_lo
	s_cbranch_execz .LBB0_31
; %bb.30:
	v_mul_lo_u32 v2, s3, v60
	v_mul_lo_u32 v3, s2, v61
	v_mad_co_u64_u32 v[0:1], null, s2, v60, 0
	v_dual_mov_b32 v59, 0 :: v_dual_add_nc_u32 v10, 63, v58
	v_lshlrev_b64_e32 v[8:9], 4, v[56:57]
	v_lshl_add_u32 v34, v58, 4, 0
	s_delay_alu instid0(VALU_DEP_3) | instskip(SKIP_4) | instid1(VALU_DEP_4)
	v_dual_mov_b32 v11, v59 :: v_dual_add_nc_u32 v12, 0x7e, v58
	v_add3_u32 v1, v1, v3, v2
	v_lshlrev_b64_e32 v[14:15], 4, v[58:59]
	v_dual_mov_b32 v13, v59 :: v_dual_add_nc_u32 v22, 0xbd, v58
	v_dual_mov_b32 v23, v59 :: v_dual_add_nc_u32 v24, 0xfc, v58
	v_lshlrev_b64_e32 v[16:17], 4, v[0:1]
	ds_load_b128 v[0:3], v34
	ds_load_b128 v[4:7], v34 offset:1008
	v_mov_b32_e32 v25, v59
	v_lshlrev_b64_e32 v[22:23], 4, v[22:23]
	v_add_co_u32 v18, vcc_lo, s6, v16
	s_wait_alu 0xfffd
	v_add_co_ci_u32_e32 v19, vcc_lo, s7, v17, vcc_lo
	v_lshlrev_b64_e32 v[16:17], 4, v[10:11]
	s_delay_alu instid0(VALU_DEP_3) | instskip(SKIP_1) | instid1(VALU_DEP_3)
	v_add_co_u32 v36, vcc_lo, v18, v8
	s_wait_alu 0xfffd
	v_add_co_ci_u32_e32 v37, vcc_lo, v19, v9, vcc_lo
	v_lshlrev_b64_e32 v[18:19], 4, v[12:13]
	s_delay_alu instid0(VALU_DEP_3) | instskip(SKIP_1) | instid1(VALU_DEP_3)
	v_add_co_u32 v20, vcc_lo, v36, v14
	s_wait_alu 0xfffd
	v_add_co_ci_u32_e32 v21, vcc_lo, v37, v15, vcc_lo
	ds_load_b128 v[8:11], v34 offset:2016
	ds_load_b128 v[12:15], v34 offset:3024
	v_add_co_u32 v16, vcc_lo, v36, v16
	s_wait_alu 0xfffd
	v_add_co_ci_u32_e32 v17, vcc_lo, v37, v17, vcc_lo
	v_add_co_u32 v18, vcc_lo, v36, v18
	s_wait_alu 0xfffd
	v_add_co_ci_u32_e32 v19, vcc_lo, v37, v19, vcc_lo
	v_add_co_u32 v22, vcc_lo, v36, v22
	s_wait_dscnt 0x3
	global_store_b128 v[20:21], v[0:3], off
	s_wait_dscnt 0x2
	global_store_b128 v[16:17], v[4:7], off
	v_dual_mov_b32 v3, v59 :: v_dual_add_nc_u32 v2, 0x13b, v58
	s_wait_alu 0xfffd
	v_add_co_ci_u32_e32 v23, vcc_lo, v37, v23, vcc_lo
	v_lshlrev_b64_e32 v[0:1], 4, v[24:25]
	s_wait_dscnt 0x1
	global_store_b128 v[18:19], v[8:11], off
	s_wait_dscnt 0x0
	global_store_b128 v[22:23], v[12:15], off
	v_add_nc_u32_e32 v10, 0x17a, v58
	v_lshlrev_b64_e32 v[8:9], 4, v[2:3]
	v_add_co_u32 v24, vcc_lo, v36, v0
	v_dual_mov_b32 v11, v59 :: v_dual_add_nc_u32 v16, 0x1b9, v58
	s_wait_alu 0xfffd
	v_add_co_ci_u32_e32 v25, vcc_lo, v37, v1, vcc_lo
	s_delay_alu instid0(VALU_DEP_4)
	v_add_co_u32 v26, vcc_lo, v36, v8
	s_wait_alu 0xfffd
	v_add_co_ci_u32_e32 v27, vcc_lo, v37, v9, vcc_lo
	v_lshlrev_b64_e32 v[8:9], 4, v[10:11]
	v_dual_mov_b32 v17, v59 :: v_dual_add_nc_u32 v18, 0x1f8, v58
	v_dual_mov_b32 v19, v59 :: v_dual_add_nc_u32 v58, 0x237, v58
	ds_load_b128 v[0:3], v34 offset:4032
	ds_load_b128 v[4:7], v34 offset:5040
	v_add_co_u32 v28, vcc_lo, v36, v8
	s_wait_alu 0xfffd
	v_add_co_ci_u32_e32 v29, vcc_lo, v37, v9, vcc_lo
	ds_load_b128 v[8:11], v34 offset:6048
	ds_load_b128 v[12:15], v34 offset:7056
	v_lshlrev_b64_e32 v[30:31], 4, v[16:17]
	v_lshlrev_b64_e32 v[32:33], 4, v[18:19]
	ds_load_b128 v[16:19], v34 offset:8064
	ds_load_b128 v[20:23], v34 offset:9072
	v_lshlrev_b64_e32 v[34:35], 4, v[58:59]
	v_add_co_u32 v30, vcc_lo, v36, v30
	s_wait_alu 0xfffd
	v_add_co_ci_u32_e32 v31, vcc_lo, v37, v31, vcc_lo
	v_add_co_u32 v32, vcc_lo, v36, v32
	s_wait_alu 0xfffd
	v_add_co_ci_u32_e32 v33, vcc_lo, v37, v33, vcc_lo
	;; [unrolled: 3-line block ×3, first 2 shown]
	s_wait_dscnt 0x5
	global_store_b128 v[24:25], v[0:3], off
	s_wait_dscnt 0x4
	global_store_b128 v[26:27], v[4:7], off
	;; [unrolled: 2-line block ×6, first 2 shown]
.LBB0_31:
	s_nop 0
	s_sendmsg sendmsg(MSG_DEALLOC_VGPRS)
	s_endpgm
	.section	.rodata,"a",@progbits
	.p2align	6, 0x0
	.amdhsa_kernel fft_rtc_fwd_len630_factors_3_3_5_7_2_wgs_63_tpt_63_halfLds_dp_op_CI_CI_unitstride_sbrr_C2R_dirReg
		.amdhsa_group_segment_fixed_size 0
		.amdhsa_private_segment_fixed_size 0
		.amdhsa_kernarg_size 104
		.amdhsa_user_sgpr_count 2
		.amdhsa_user_sgpr_dispatch_ptr 0
		.amdhsa_user_sgpr_queue_ptr 0
		.amdhsa_user_sgpr_kernarg_segment_ptr 1
		.amdhsa_user_sgpr_dispatch_id 0
		.amdhsa_user_sgpr_private_segment_size 0
		.amdhsa_wavefront_size32 1
		.amdhsa_uses_dynamic_stack 0
		.amdhsa_enable_private_segment 0
		.amdhsa_system_sgpr_workgroup_id_x 1
		.amdhsa_system_sgpr_workgroup_id_y 0
		.amdhsa_system_sgpr_workgroup_id_z 0
		.amdhsa_system_sgpr_workgroup_info 0
		.amdhsa_system_vgpr_workitem_id 0
		.amdhsa_next_free_vgpr 128
		.amdhsa_next_free_sgpr 39
		.amdhsa_reserve_vcc 1
		.amdhsa_float_round_mode_32 0
		.amdhsa_float_round_mode_16_64 0
		.amdhsa_float_denorm_mode_32 3
		.amdhsa_float_denorm_mode_16_64 3
		.amdhsa_fp16_overflow 0
		.amdhsa_workgroup_processor_mode 1
		.amdhsa_memory_ordered 1
		.amdhsa_forward_progress 0
		.amdhsa_round_robin_scheduling 0
		.amdhsa_exception_fp_ieee_invalid_op 0
		.amdhsa_exception_fp_denorm_src 0
		.amdhsa_exception_fp_ieee_div_zero 0
		.amdhsa_exception_fp_ieee_overflow 0
		.amdhsa_exception_fp_ieee_underflow 0
		.amdhsa_exception_fp_ieee_inexact 0
		.amdhsa_exception_int_div_zero 0
	.end_amdhsa_kernel
	.text
.Lfunc_end0:
	.size	fft_rtc_fwd_len630_factors_3_3_5_7_2_wgs_63_tpt_63_halfLds_dp_op_CI_CI_unitstride_sbrr_C2R_dirReg, .Lfunc_end0-fft_rtc_fwd_len630_factors_3_3_5_7_2_wgs_63_tpt_63_halfLds_dp_op_CI_CI_unitstride_sbrr_C2R_dirReg
                                        ; -- End function
	.section	.AMDGPU.csdata,"",@progbits
; Kernel info:
; codeLenInByte = 9992
; NumSgprs: 41
; NumVgprs: 128
; ScratchSize: 0
; MemoryBound: 0
; FloatMode: 240
; IeeeMode: 1
; LDSByteSize: 0 bytes/workgroup (compile time only)
; SGPRBlocks: 5
; VGPRBlocks: 15
; NumSGPRsForWavesPerEU: 41
; NumVGPRsForWavesPerEU: 128
; Occupancy: 10
; WaveLimiterHint : 1
; COMPUTE_PGM_RSRC2:SCRATCH_EN: 0
; COMPUTE_PGM_RSRC2:USER_SGPR: 2
; COMPUTE_PGM_RSRC2:TRAP_HANDLER: 0
; COMPUTE_PGM_RSRC2:TGID_X_EN: 1
; COMPUTE_PGM_RSRC2:TGID_Y_EN: 0
; COMPUTE_PGM_RSRC2:TGID_Z_EN: 0
; COMPUTE_PGM_RSRC2:TIDIG_COMP_CNT: 0
	.text
	.p2alignl 7, 3214868480
	.fill 96, 4, 3214868480
	.type	__hip_cuid_eb620d84883c9c1a,@object ; @__hip_cuid_eb620d84883c9c1a
	.section	.bss,"aw",@nobits
	.globl	__hip_cuid_eb620d84883c9c1a
__hip_cuid_eb620d84883c9c1a:
	.byte	0                               ; 0x0
	.size	__hip_cuid_eb620d84883c9c1a, 1

	.ident	"AMD clang version 19.0.0git (https://github.com/RadeonOpenCompute/llvm-project roc-6.4.0 25133 c7fe45cf4b819c5991fe208aaa96edf142730f1d)"
	.section	".note.GNU-stack","",@progbits
	.addrsig
	.addrsig_sym __hip_cuid_eb620d84883c9c1a
	.amdgpu_metadata
---
amdhsa.kernels:
  - .args:
      - .actual_access:  read_only
        .address_space:  global
        .offset:         0
        .size:           8
        .value_kind:     global_buffer
      - .offset:         8
        .size:           8
        .value_kind:     by_value
      - .actual_access:  read_only
        .address_space:  global
        .offset:         16
        .size:           8
        .value_kind:     global_buffer
      - .actual_access:  read_only
        .address_space:  global
        .offset:         24
        .size:           8
        .value_kind:     global_buffer
      - .actual_access:  read_only
        .address_space:  global
        .offset:         32
        .size:           8
        .value_kind:     global_buffer
      - .offset:         40
        .size:           8
        .value_kind:     by_value
      - .actual_access:  read_only
        .address_space:  global
        .offset:         48
        .size:           8
        .value_kind:     global_buffer
      - .actual_access:  read_only
        .address_space:  global
        .offset:         56
        .size:           8
        .value_kind:     global_buffer
      - .offset:         64
        .size:           4
        .value_kind:     by_value
      - .actual_access:  read_only
        .address_space:  global
        .offset:         72
        .size:           8
        .value_kind:     global_buffer
      - .actual_access:  read_only
        .address_space:  global
        .offset:         80
        .size:           8
        .value_kind:     global_buffer
      - .actual_access:  read_only
        .address_space:  global
        .offset:         88
        .size:           8
        .value_kind:     global_buffer
      - .actual_access:  write_only
        .address_space:  global
        .offset:         96
        .size:           8
        .value_kind:     global_buffer
    .group_segment_fixed_size: 0
    .kernarg_segment_align: 8
    .kernarg_segment_size: 104
    .language:       OpenCL C
    .language_version:
      - 2
      - 0
    .max_flat_workgroup_size: 63
    .name:           fft_rtc_fwd_len630_factors_3_3_5_7_2_wgs_63_tpt_63_halfLds_dp_op_CI_CI_unitstride_sbrr_C2R_dirReg
    .private_segment_fixed_size: 0
    .sgpr_count:     41
    .sgpr_spill_count: 0
    .symbol:         fft_rtc_fwd_len630_factors_3_3_5_7_2_wgs_63_tpt_63_halfLds_dp_op_CI_CI_unitstride_sbrr_C2R_dirReg.kd
    .uniform_work_group_size: 1
    .uses_dynamic_stack: false
    .vgpr_count:     128
    .vgpr_spill_count: 0
    .wavefront_size: 32
    .workgroup_processor_mode: 1
amdhsa.target:   amdgcn-amd-amdhsa--gfx1201
amdhsa.version:
  - 1
  - 2
...

	.end_amdgpu_metadata
